;; amdgpu-corpus repo=ROCm/rocFFT kind=compiled arch=gfx1030 opt=O3
	.text
	.amdgcn_target "amdgcn-amd-amdhsa--gfx1030"
	.amdhsa_code_object_version 6
	.protected	fft_rtc_back_len1452_factors_11_3_11_4_wgs_132_tpt_132_halfLds_sp_op_CI_CI_unitstride_sbrr_C2R_dirReg ; -- Begin function fft_rtc_back_len1452_factors_11_3_11_4_wgs_132_tpt_132_halfLds_sp_op_CI_CI_unitstride_sbrr_C2R_dirReg
	.globl	fft_rtc_back_len1452_factors_11_3_11_4_wgs_132_tpt_132_halfLds_sp_op_CI_CI_unitstride_sbrr_C2R_dirReg
	.p2align	8
	.type	fft_rtc_back_len1452_factors_11_3_11_4_wgs_132_tpt_132_halfLds_sp_op_CI_CI_unitstride_sbrr_C2R_dirReg,@function
fft_rtc_back_len1452_factors_11_3_11_4_wgs_132_tpt_132_halfLds_sp_op_CI_CI_unitstride_sbrr_C2R_dirReg: ; @fft_rtc_back_len1452_factors_11_3_11_4_wgs_132_tpt_132_halfLds_sp_op_CI_CI_unitstride_sbrr_C2R_dirReg
; %bb.0:
	s_clause 0x2
	s_load_dwordx4 s[12:15], s[4:5], 0x0
	s_load_dwordx4 s[8:11], s[4:5], 0x58
	;; [unrolled: 1-line block ×3, first 2 shown]
	v_mul_u32_u24_e32 v1, 0x1f1, v0
	v_mov_b32_e32 v3, 0
	v_add_nc_u32_sdwa v5, s6, v1 dst_sel:DWORD dst_unused:UNUSED_PAD src0_sel:DWORD src1_sel:WORD_1
	v_mov_b32_e32 v1, 0
	v_mov_b32_e32 v6, v3
	v_mov_b32_e32 v2, 0
	s_waitcnt lgkmcnt(0)
	v_cmp_lt_u64_e64 s0, s[14:15], 2
	s_and_b32 vcc_lo, exec_lo, s0
	s_cbranch_vccnz .LBB0_8
; %bb.1:
	s_load_dwordx2 s[0:1], s[4:5], 0x10
	v_mov_b32_e32 v1, 0
	v_mov_b32_e32 v2, 0
	s_add_u32 s2, s18, 8
	s_addc_u32 s3, s19, 0
	s_add_u32 s6, s16, 8
	s_addc_u32 s7, s17, 0
	v_mov_b32_e32 v41, v2
	v_mov_b32_e32 v40, v1
	s_mov_b64 s[22:23], 1
	s_waitcnt lgkmcnt(0)
	s_add_u32 s20, s0, 8
	s_addc_u32 s21, s1, 0
.LBB0_2:                                ; =>This Inner Loop Header: Depth=1
	s_load_dwordx2 s[24:25], s[20:21], 0x0
                                        ; implicit-def: $vgpr42_vgpr43
	s_mov_b32 s0, exec_lo
	s_waitcnt lgkmcnt(0)
	v_or_b32_e32 v4, s25, v6
	v_cmpx_ne_u64_e32 0, v[3:4]
	s_xor_b32 s1, exec_lo, s0
	s_cbranch_execz .LBB0_4
; %bb.3:                                ;   in Loop: Header=BB0_2 Depth=1
	v_cvt_f32_u32_e32 v4, s24
	v_cvt_f32_u32_e32 v7, s25
	s_sub_u32 s0, 0, s24
	s_subb_u32 s26, 0, s25
	v_fmac_f32_e32 v4, 0x4f800000, v7
	v_rcp_f32_e32 v4, v4
	v_mul_f32_e32 v4, 0x5f7ffffc, v4
	v_mul_f32_e32 v7, 0x2f800000, v4
	v_trunc_f32_e32 v7, v7
	v_fmac_f32_e32 v4, 0xcf800000, v7
	v_cvt_u32_f32_e32 v7, v7
	v_cvt_u32_f32_e32 v4, v4
	v_mul_lo_u32 v8, s0, v7
	v_mul_hi_u32 v9, s0, v4
	v_mul_lo_u32 v10, s26, v4
	v_add_nc_u32_e32 v8, v9, v8
	v_mul_lo_u32 v9, s0, v4
	v_add_nc_u32_e32 v8, v8, v10
	v_mul_hi_u32 v10, v4, v9
	v_mul_lo_u32 v11, v4, v8
	v_mul_hi_u32 v12, v4, v8
	v_mul_hi_u32 v13, v7, v9
	v_mul_lo_u32 v9, v7, v9
	v_mul_hi_u32 v14, v7, v8
	v_mul_lo_u32 v8, v7, v8
	v_add_co_u32 v10, vcc_lo, v10, v11
	v_add_co_ci_u32_e32 v11, vcc_lo, 0, v12, vcc_lo
	v_add_co_u32 v9, vcc_lo, v10, v9
	v_add_co_ci_u32_e32 v9, vcc_lo, v11, v13, vcc_lo
	v_add_co_ci_u32_e32 v10, vcc_lo, 0, v14, vcc_lo
	v_add_co_u32 v8, vcc_lo, v9, v8
	v_add_co_ci_u32_e32 v9, vcc_lo, 0, v10, vcc_lo
	v_add_co_u32 v4, vcc_lo, v4, v8
	v_add_co_ci_u32_e32 v7, vcc_lo, v7, v9, vcc_lo
	v_mul_hi_u32 v8, s0, v4
	v_mul_lo_u32 v10, s26, v4
	v_mul_lo_u32 v9, s0, v7
	v_add_nc_u32_e32 v8, v8, v9
	v_mul_lo_u32 v9, s0, v4
	v_add_nc_u32_e32 v8, v8, v10
	v_mul_hi_u32 v10, v4, v9
	v_mul_lo_u32 v11, v4, v8
	v_mul_hi_u32 v12, v4, v8
	v_mul_hi_u32 v13, v7, v9
	v_mul_lo_u32 v9, v7, v9
	v_mul_hi_u32 v14, v7, v8
	v_mul_lo_u32 v8, v7, v8
	v_add_co_u32 v10, vcc_lo, v10, v11
	v_add_co_ci_u32_e32 v11, vcc_lo, 0, v12, vcc_lo
	v_add_co_u32 v9, vcc_lo, v10, v9
	v_add_co_ci_u32_e32 v9, vcc_lo, v11, v13, vcc_lo
	v_add_co_ci_u32_e32 v10, vcc_lo, 0, v14, vcc_lo
	v_add_co_u32 v8, vcc_lo, v9, v8
	v_add_co_ci_u32_e32 v9, vcc_lo, 0, v10, vcc_lo
	v_add_co_u32 v4, vcc_lo, v4, v8
	v_add_co_ci_u32_e32 v11, vcc_lo, v7, v9, vcc_lo
	v_mul_hi_u32 v13, v5, v4
	v_mad_u64_u32 v[9:10], null, v6, v4, 0
	v_mad_u64_u32 v[7:8], null, v5, v11, 0
	;; [unrolled: 1-line block ×3, first 2 shown]
	v_add_co_u32 v4, vcc_lo, v13, v7
	v_add_co_ci_u32_e32 v7, vcc_lo, 0, v8, vcc_lo
	v_add_co_u32 v4, vcc_lo, v4, v9
	v_add_co_ci_u32_e32 v4, vcc_lo, v7, v10, vcc_lo
	v_add_co_ci_u32_e32 v7, vcc_lo, 0, v12, vcc_lo
	v_add_co_u32 v4, vcc_lo, v4, v11
	v_add_co_ci_u32_e32 v9, vcc_lo, 0, v7, vcc_lo
	v_mul_lo_u32 v10, s25, v4
	v_mad_u64_u32 v[7:8], null, s24, v4, 0
	v_mul_lo_u32 v11, s24, v9
	v_sub_co_u32 v7, vcc_lo, v5, v7
	v_add3_u32 v8, v8, v11, v10
	v_sub_nc_u32_e32 v10, v6, v8
	v_subrev_co_ci_u32_e64 v10, s0, s25, v10, vcc_lo
	v_add_co_u32 v11, s0, v4, 2
	v_add_co_ci_u32_e64 v12, s0, 0, v9, s0
	v_sub_co_u32 v13, s0, v7, s24
	v_sub_co_ci_u32_e32 v8, vcc_lo, v6, v8, vcc_lo
	v_subrev_co_ci_u32_e64 v10, s0, 0, v10, s0
	v_cmp_le_u32_e32 vcc_lo, s24, v13
	v_cmp_eq_u32_e64 s0, s25, v8
	v_cndmask_b32_e64 v13, 0, -1, vcc_lo
	v_cmp_le_u32_e32 vcc_lo, s25, v10
	v_cndmask_b32_e64 v14, 0, -1, vcc_lo
	v_cmp_le_u32_e32 vcc_lo, s24, v7
	;; [unrolled: 2-line block ×3, first 2 shown]
	v_cndmask_b32_e64 v15, 0, -1, vcc_lo
	v_cmp_eq_u32_e32 vcc_lo, s25, v10
	v_cndmask_b32_e64 v7, v15, v7, s0
	v_cndmask_b32_e32 v10, v14, v13, vcc_lo
	v_add_co_u32 v13, vcc_lo, v4, 1
	v_add_co_ci_u32_e32 v14, vcc_lo, 0, v9, vcc_lo
	v_cmp_ne_u32_e32 vcc_lo, 0, v10
	v_cndmask_b32_e32 v8, v14, v12, vcc_lo
	v_cndmask_b32_e32 v10, v13, v11, vcc_lo
	v_cmp_ne_u32_e32 vcc_lo, 0, v7
	v_cndmask_b32_e32 v43, v9, v8, vcc_lo
	v_cndmask_b32_e32 v42, v4, v10, vcc_lo
.LBB0_4:                                ;   in Loop: Header=BB0_2 Depth=1
	s_andn2_saveexec_b32 s0, s1
	s_cbranch_execz .LBB0_6
; %bb.5:                                ;   in Loop: Header=BB0_2 Depth=1
	v_cvt_f32_u32_e32 v4, s24
	s_sub_i32 s1, 0, s24
	v_mov_b32_e32 v43, v3
	v_rcp_iflag_f32_e32 v4, v4
	v_mul_f32_e32 v4, 0x4f7ffffe, v4
	v_cvt_u32_f32_e32 v4, v4
	v_mul_lo_u32 v7, s1, v4
	v_mul_hi_u32 v7, v4, v7
	v_add_nc_u32_e32 v4, v4, v7
	v_mul_hi_u32 v4, v5, v4
	v_mul_lo_u32 v7, v4, s24
	v_add_nc_u32_e32 v8, 1, v4
	v_sub_nc_u32_e32 v7, v5, v7
	v_subrev_nc_u32_e32 v9, s24, v7
	v_cmp_le_u32_e32 vcc_lo, s24, v7
	v_cndmask_b32_e32 v7, v7, v9, vcc_lo
	v_cndmask_b32_e32 v4, v4, v8, vcc_lo
	v_cmp_le_u32_e32 vcc_lo, s24, v7
	v_add_nc_u32_e32 v8, 1, v4
	v_cndmask_b32_e32 v42, v4, v8, vcc_lo
.LBB0_6:                                ;   in Loop: Header=BB0_2 Depth=1
	s_or_b32 exec_lo, exec_lo, s0
	v_mul_lo_u32 v4, v43, s24
	v_mul_lo_u32 v9, v42, s25
	s_load_dwordx2 s[0:1], s[6:7], 0x0
	v_mad_u64_u32 v[7:8], null, v42, s24, 0
	s_load_dwordx2 s[24:25], s[2:3], 0x0
	s_add_u32 s22, s22, 1
	s_addc_u32 s23, s23, 0
	s_add_u32 s2, s2, 8
	s_addc_u32 s3, s3, 0
	s_add_u32 s6, s6, 8
	v_add3_u32 v4, v8, v9, v4
	v_sub_co_u32 v5, vcc_lo, v5, v7
	s_addc_u32 s7, s7, 0
	s_add_u32 s20, s20, 8
	v_sub_co_ci_u32_e32 v4, vcc_lo, v6, v4, vcc_lo
	s_addc_u32 s21, s21, 0
	s_waitcnt lgkmcnt(0)
	v_mul_lo_u32 v6, s0, v4
	v_mul_lo_u32 v7, s1, v5
	v_mad_u64_u32 v[1:2], null, s0, v5, v[1:2]
	v_mul_lo_u32 v4, s24, v4
	v_mul_lo_u32 v8, s25, v5
	v_mad_u64_u32 v[40:41], null, s24, v5, v[40:41]
	v_cmp_ge_u64_e64 s0, s[22:23], s[14:15]
	v_add3_u32 v2, v7, v2, v6
	v_add3_u32 v41, v8, v41, v4
	s_and_b32 vcc_lo, exec_lo, s0
	s_cbranch_vccnz .LBB0_9
; %bb.7:                                ;   in Loop: Header=BB0_2 Depth=1
	v_mov_b32_e32 v5, v42
	v_mov_b32_e32 v6, v43
	s_branch .LBB0_2
.LBB0_8:
	v_mov_b32_e32 v41, v2
	v_mov_b32_e32 v43, v6
	;; [unrolled: 1-line block ×4, first 2 shown]
.LBB0_9:
	s_load_dwordx2 s[0:1], s[4:5], 0x28
	v_mul_hi_u32 v3, 0x1f07c20, v0
	s_lshl_b64 s[4:5], s[14:15], 3
                                        ; implicit-def: $vgpr44
	s_add_u32 s2, s18, s4
	s_addc_u32 s3, s19, s5
	s_waitcnt lgkmcnt(0)
	v_cmp_gt_u64_e32 vcc_lo, s[0:1], v[42:43]
	v_cmp_le_u64_e64 s0, s[0:1], v[42:43]
	s_and_saveexec_b32 s1, s0
	s_xor_b32 s0, exec_lo, s1
; %bb.10:
	v_mul_u32_u24_e32 v1, 0x84, v3
                                        ; implicit-def: $vgpr3
	v_sub_nc_u32_e32 v44, v0, v1
                                        ; implicit-def: $vgpr0
                                        ; implicit-def: $vgpr1_vgpr2
; %bb.11:
	s_or_saveexec_b32 s1, s0
	s_load_dwordx2 s[2:3], s[2:3], 0x0
	s_xor_b32 exec_lo, exec_lo, s1
	s_cbranch_execz .LBB0_15
; %bb.12:
	s_add_u32 s4, s16, s4
	s_addc_u32 s5, s17, s5
	v_lshlrev_b64 v[1:2], 3, v[1:2]
	s_load_dwordx2 s[4:5], s[4:5], 0x0
	s_waitcnt lgkmcnt(0)
	v_mul_lo_u32 v6, s5, v42
	v_mul_lo_u32 v7, s4, v43
	v_mad_u64_u32 v[4:5], null, s4, v42, 0
	s_mov_b32 s4, exec_lo
	v_add3_u32 v5, v5, v7, v6
	v_mul_u32_u24_e32 v6, 0x84, v3
	v_lshlrev_b64 v[3:4], 3, v[4:5]
	v_sub_nc_u32_e32 v44, v0, v6
	v_lshlrev_b32_e32 v24, 3, v44
	v_add_co_u32 v0, s0, s8, v3
	v_add_co_ci_u32_e64 v3, s0, s9, v4, s0
	v_add_co_u32 v0, s0, v0, v1
	v_add_co_ci_u32_e64 v1, s0, v3, v2, s0
	;; [unrolled: 2-line block ×3, first 2 shown]
	v_add_nc_u32_e32 v24, 0, v24
	v_add_co_u32 v4, s0, 0x800, v2
	v_add_co_ci_u32_e64 v5, s0, 0, v3, s0
	v_add_co_u32 v6, s0, 0x1000, v2
	v_add_co_ci_u32_e64 v7, s0, 0, v3, s0
	;; [unrolled: 2-line block ×5, first 2 shown]
	s_clause 0xa
	global_load_dwordx2 v[14:15], v[2:3], off
	global_load_dwordx2 v[2:3], v[2:3], off offset:1056
	global_load_dwordx2 v[16:17], v[4:5], off offset:64
	;; [unrolled: 1-line block ×10, first 2 shown]
	v_add_nc_u32_e32 v25, 0x800, v24
	v_add_nc_u32_e32 v26, 0x1000, v24
	v_add_nc_u32_e32 v27, 0x1800, v24
	v_add_nc_u32_e32 v28, 0x2000, v24
	s_waitcnt vmcnt(9)
	ds_write2_b64 v24, v[14:15], v[2:3] offset1:132
	s_waitcnt vmcnt(7)
	ds_write2_b64 v25, v[16:17], v[4:5] offset0:8 offset1:140
	s_waitcnt vmcnt(5)
	ds_write2_b64 v26, v[18:19], v[6:7] offset0:16 offset1:148
	;; [unrolled: 2-line block ×4, first 2 shown]
	s_waitcnt vmcnt(0)
	ds_write_b64 v24, v[12:13] offset:10560
	v_cmpx_eq_u32_e32 0x83, v44
	s_cbranch_execz .LBB0_14
; %bb.13:
	v_add_co_u32 v0, s0, 0x2800, v0
	v_add_co_ci_u32_e64 v1, s0, 0, v1, s0
	v_mov_b32_e32 v2, 0
	v_mov_b32_e32 v44, 0x83
	global_load_dwordx2 v[0:1], v[0:1], off offset:1376
	s_waitcnt vmcnt(0)
	ds_write_b64 v2, v[0:1] offset:11616
.LBB0_14:
	s_or_b32 exec_lo, exec_lo, s4
.LBB0_15:
	s_or_b32 exec_lo, exec_lo, s1
	v_lshlrev_b32_e32 v0, 3, v44
	s_waitcnt lgkmcnt(0)
	s_barrier
	buffer_gl0_inv
	s_add_u32 s1, s12, 0x2d08
	v_add_nc_u32_e32 v49, 0, v0
	v_sub_nc_u32_e32 v4, 0, v0
	s_addc_u32 s4, s13, 0
	s_mov_b32 s5, exec_lo
                                        ; implicit-def: $vgpr2_vgpr3
	ds_read_b32 v5, v49
	ds_read_b32 v6, v4 offset:11616
	s_waitcnt lgkmcnt(0)
	v_add_f32_e32 v0, v6, v5
	v_sub_f32_e32 v1, v5, v6
	v_cmpx_ne_u32_e32 0, v44
	s_xor_b32 s5, exec_lo, s5
	s_cbranch_execz .LBB0_17
; %bb.16:
	v_mov_b32_e32 v45, 0
	v_add_f32_e32 v7, v6, v5
	v_sub_f32_e32 v8, v5, v6
	v_lshlrev_b64 v[0:1], 3, v[44:45]
	v_add_co_u32 v0, s0, s1, v0
	v_add_co_ci_u32_e64 v1, s0, s4, v1, s0
	global_load_dwordx2 v[2:3], v[0:1], off
	ds_read_b32 v0, v4 offset:11620
	ds_read_b32 v1, v49 offset:4
	s_waitcnt lgkmcnt(0)
	v_add_f32_e32 v9, v0, v1
	v_sub_f32_e32 v0, v1, v0
	s_waitcnt vmcnt(0)
	v_fma_f32 v5, -v8, v3, v7
	v_fma_f32 v6, v9, v3, -v0
	v_fma_f32 v10, v8, v3, v7
	v_fma_f32 v1, v9, v3, v0
	v_fmac_f32_e32 v5, v2, v9
	v_fmac_f32_e32 v6, v8, v2
	v_fma_f32 v0, -v2, v9, v10
	v_fmac_f32_e32 v1, v8, v2
	v_mov_b32_e32 v2, v44
	v_mov_b32_e32 v3, v45
	ds_write_b64 v4, v[5:6] offset:11616
.LBB0_17:
	s_andn2_saveexec_b32 s0, s5
	s_cbranch_execz .LBB0_19
; %bb.18:
	v_mov_b32_e32 v7, 0
	ds_read_b64 v[2:3], v7 offset:5808
	s_waitcnt lgkmcnt(0)
	v_add_f32_e32 v5, v2, v2
	v_mul_f32_e32 v6, -2.0, v3
	v_mov_b32_e32 v2, 0
	v_mov_b32_e32 v3, 0
	ds_write_b64 v7, v[5:6] offset:5808
.LBB0_19:
	s_or_b32 exec_lo, exec_lo, s0
	v_lshlrev_b64 v[2:3], 3, v[2:3]
	v_add_co_u32 v2, s0, s1, v2
	v_add_co_ci_u32_e64 v3, s0, s4, v3, s0
	s_mov_b32 s1, exec_lo
	v_add_co_u32 v7, s0, 0x800, v2
	global_load_dwordx2 v[5:6], v[2:3], off offset:1056
	v_add_co_ci_u32_e64 v8, s0, 0, v3, s0
	v_add_co_u32 v2, s0, 0x1000, v2
	s_clause 0x1
	global_load_dwordx2 v[9:10], v[7:8], off offset:64
	global_load_dwordx2 v[7:8], v[7:8], off offset:1120
	v_add_co_ci_u32_e64 v3, s0, 0, v3, s0
	ds_write_b64 v49, v[0:1]
	global_load_dwordx2 v[11:12], v[2:3], off offset:128
	ds_read_b64 v[0:1], v49 offset:1056
	ds_read_b64 v[13:14], v4 offset:10560
	s_waitcnt lgkmcnt(0)
	v_add_f32_e32 v15, v0, v13
	v_add_f32_e32 v16, v14, v1
	v_sub_f32_e32 v17, v0, v13
	v_sub_f32_e32 v0, v1, v14
	s_waitcnt vmcnt(3)
	v_fma_f32 v18, v17, v6, v15
	v_fma_f32 v1, v16, v6, v0
	v_fma_f32 v13, -v17, v6, v15
	v_fma_f32 v14, v16, v6, -v0
	v_fma_f32 v0, -v5, v16, v18
	v_fmac_f32_e32 v1, v17, v5
	v_fmac_f32_e32 v13, v5, v16
	v_fmac_f32_e32 v14, v17, v5
	ds_write_b64 v49, v[0:1] offset:1056
	ds_write_b64 v4, v[13:14] offset:10560
	ds_read_b64 v[0:1], v49 offset:2112
	ds_read_b64 v[5:6], v4 offset:9504
	s_waitcnt lgkmcnt(0)
	v_add_f32_e32 v13, v0, v5
	v_add_f32_e32 v14, v6, v1
	v_sub_f32_e32 v15, v0, v5
	v_sub_f32_e32 v0, v1, v6
	s_waitcnt vmcnt(2)
	v_fma_f32 v16, v15, v10, v13
	v_fma_f32 v1, v14, v10, v0
	v_fma_f32 v5, -v15, v10, v13
	v_fma_f32 v6, v14, v10, -v0
	v_fma_f32 v0, -v9, v14, v16
	v_fmac_f32_e32 v1, v15, v9
	v_fmac_f32_e32 v5, v9, v14
	v_fmac_f32_e32 v6, v15, v9
	ds_write_b64 v49, v[0:1] offset:2112
	ds_write_b64 v4, v[5:6] offset:9504
	;; [unrolled: 18-line block ×4, first 2 shown]
	v_cmpx_gt_u32_e32 0x42, v44
	s_cbranch_execz .LBB0_21
; %bb.20:
	global_load_dwordx2 v[0:1], v[2:3], off offset:1184
	ds_read_b64 v[2:3], v49 offset:5280
	ds_read_b64 v[5:6], v4 offset:6336
	s_waitcnt lgkmcnt(0)
	v_add_f32_e32 v7, v2, v5
	v_add_f32_e32 v8, v6, v3
	v_sub_f32_e32 v9, v2, v5
	v_sub_f32_e32 v3, v3, v6
	s_waitcnt vmcnt(0)
	v_fma_f32 v10, v9, v1, v7
	v_fma_f32 v2, v8, v1, v3
	v_fma_f32 v5, -v9, v1, v7
	v_fma_f32 v6, v8, v1, -v3
	v_fma_f32 v1, -v0, v8, v10
	v_fmac_f32_e32 v2, v9, v0
	v_fmac_f32_e32 v5, v0, v8
	;; [unrolled: 1-line block ×3, first 2 shown]
	ds_write_b64 v49, v[1:2] offset:5280
	ds_write_b64 v4, v[5:6] offset:6336
.LBB0_21:
	s_or_b32 exec_lo, exec_lo, s1
	s_waitcnt lgkmcnt(0)
	s_barrier
	buffer_gl0_inv
	s_barrier
	buffer_gl0_inv
	ds_read2_b64 v[1:4], v49 offset1:132
	v_add_nc_u32_e32 v0, 0x800, v49
	ds_read_b64 v[9:10], v49 offset:10560
	ds_read2_b64 v[5:8], v0 offset0:8 offset1:140
	v_add_nc_u32_e32 v12, 0x1000, v49
	v_add_nc_u32_e32 v11, 0x1800, v49
	;; [unrolled: 1-line block ×3, first 2 shown]
	ds_read2_b64 v[13:16], v12 offset0:16 offset1:148
	ds_read2_b64 v[17:20], v11 offset0:24 offset1:156
	;; [unrolled: 1-line block ×3, first 2 shown]
	s_waitcnt lgkmcnt(0)
	s_barrier
	buffer_gl0_inv
	v_cmp_gt_u32_e64 s0, 0x58, v44
	v_add_f32_e32 v25, v2, v4
	v_add_f32_e32 v11, v1, v3
	v_sub_f32_e32 v27, v4, v10
	v_add_f32_e32 v28, v10, v4
	v_add_f32_e32 v4, v25, v6
	;; [unrolled: 1-line block ×3, first 2 shown]
	v_sub_f32_e32 v29, v3, v9
	v_add_f32_e32 v3, v11, v5
	v_mul_f32_e32 v11, 0xbf0a6770, v27
	v_add_f32_e32 v4, v4, v8
	v_mul_f32_e32 v33, 0xbe11bafb, v28
	v_sub_f32_e32 v48, v6, v24
	v_add_f32_e32 v3, v3, v7
	v_mul_f32_e32 v25, 0x3f575c64, v28
	v_add_f32_e32 v4, v4, v14
	v_mul_f32_e32 v30, 0xbf68dda4, v27
	v_mul_f32_e32 v31, 0x3ed4b147, v28
	v_add_f32_e32 v3, v3, v13
	v_mul_f32_e32 v32, 0xbf7d64f0, v27
	v_add_f32_e32 v4, v4, v16
	v_mul_f32_e32 v34, 0xbf4178ce, v27
	v_fmamk_f32 v35, v26, 0x3f575c64, v11
	v_add_f32_e32 v3, v3, v15
	v_fmamk_f32 v45, v29, 0x3f7d64f0, v33
	v_add_f32_e32 v4, v4, v18
	v_mul_f32_e32 v27, 0xbe903f40, v27
	v_add_f32_e32 v51, v23, v5
	v_add_f32_e32 v3, v3, v17
	v_mul_f32_e32 v52, 0xbf68dda4, v48
	v_add_f32_e32 v4, v4, v20
	v_add_f32_e32 v6, v24, v6
	v_fmamk_f32 v36, v29, 0x3f0a6770, v25
	v_add_f32_e32 v3, v3, v19
	v_fma_f32 v11, 0x3f575c64, v26, -v11
	v_add_f32_e32 v4, v4, v22
	v_fmac_f32_e32 v25, 0xbf0a6770, v29
	v_fmamk_f32 v37, v26, 0x3ed4b147, v30
	v_add_f32_e32 v3, v3, v21
	v_fmamk_f32 v38, v29, 0x3f68dda4, v31
	v_add_f32_e32 v4, v4, v24
	v_fma_f32 v30, 0x3ed4b147, v26, -v30
	v_fmac_f32_e32 v31, 0xbf68dda4, v29
	v_add_f32_e32 v3, v3, v23
	v_fmamk_f32 v39, v26, 0xbe11bafb, v32
	v_add_f32_e32 v4, v4, v10
	v_mul_f32_e32 v10, 0xbf27a4f4, v28
	v_mul_f32_e32 v28, 0xbf75a155, v28
	v_add_f32_e32 v35, v1, v35
	v_add_f32_e32 v3, v3, v9
	v_fma_f32 v9, 0xbe11bafb, v26, -v32
	v_fmac_f32_e32 v33, 0xbf7d64f0, v29
	v_add_f32_e32 v32, v2, v45
	v_fmamk_f32 v45, v26, 0xbf27a4f4, v34
	v_fmamk_f32 v46, v29, 0x3f4178ce, v10
	v_fma_f32 v34, 0xbf27a4f4, v26, -v34
	v_fmac_f32_e32 v10, 0xbf4178ce, v29
	v_fmamk_f32 v47, v26, 0xbf75a155, v27
	v_fmamk_f32 v50, v29, 0x3e903f40, v28
	v_fma_f32 v24, 0xbf75a155, v26, -v27
	v_fmac_f32_e32 v28, 0xbe903f40, v29
	v_sub_f32_e32 v5, v5, v23
	v_fmamk_f32 v23, v51, 0x3ed4b147, v52
	v_mul_f32_e32 v26, 0x3ed4b147, v6
	v_add_f32_e32 v36, v2, v36
	v_add_f32_e32 v11, v1, v11
	;; [unrolled: 1-line block ×19, first 2 shown]
	v_fmamk_f32 v24, v5, 0x3f68dda4, v26
	v_mul_f32_e32 v28, 0xbf4178ce, v48
	v_fma_f32 v29, 0x3ed4b147, v51, -v52
	v_fmac_f32_e32 v26, 0xbf68dda4, v5
	v_mul_f32_e32 v35, 0xbf27a4f4, v6
	v_add_f32_e32 v24, v24, v36
	v_fmamk_f32 v36, v51, 0xbf27a4f4, v28
	v_add_f32_e32 v11, v29, v11
	v_add_f32_e32 v25, v26, v25
	v_fmamk_f32 v26, v5, 0x3f4178ce, v35
	v_mul_f32_e32 v29, 0x3e903f40, v48
	v_fma_f32 v28, 0xbf27a4f4, v51, -v28
	v_fmac_f32_e32 v35, 0xbf4178ce, v5
	v_add_f32_e32 v36, v36, v37
	v_add_f32_e32 v26, v26, v38
	v_fmamk_f32 v37, v51, 0xbf75a155, v29
	v_mul_f32_e32 v38, 0xbf75a155, v6
	v_add_f32_e32 v28, v28, v30
	v_add_f32_e32 v30, v35, v31
	v_mul_f32_e32 v31, 0x3f7d64f0, v48
	v_add_f32_e32 v35, v37, v39
	v_fmamk_f32 v37, v5, 0xbe903f40, v38
	v_fma_f32 v29, 0xbf75a155, v51, -v29
	v_fmac_f32_e32 v38, 0x3e903f40, v5
	v_fmamk_f32 v39, v51, 0xbe11bafb, v31
	v_mul_f32_e32 v50, 0xbe11bafb, v6
	v_mul_f32_e32 v6, 0x3f575c64, v6
	v_fma_f32 v31, 0xbe11bafb, v51, -v31
	v_add_f32_e32 v9, v29, v9
	v_add_f32_e32 v29, v38, v33
	;; [unrolled: 1-line block ×3, first 2 shown]
	v_fmamk_f32 v45, v5, 0xbf0a6770, v6
	v_add_f32_e32 v31, v31, v34
	v_sub_f32_e32 v34, v8, v22
	v_mul_f32_e32 v38, 0x3f0a6770, v48
	v_add_f32_e32 v8, v22, v8
	v_add_f32_e32 v27, v45, v27
	v_add_f32_e32 v45, v21, v7
	v_mul_f32_e32 v22, 0xbf7d64f0, v34
	v_fmac_f32_e32 v6, 0x3f0a6770, v5
	v_add_f32_e32 v32, v37, v32
	v_fmamk_f32 v37, v5, 0xbf7d64f0, v50
	v_fmac_f32_e32 v50, 0x3f7d64f0, v5
	v_fmamk_f32 v39, v51, 0x3f575c64, v38
	v_fma_f32 v38, 0x3f575c64, v51, -v38
	v_sub_f32_e32 v5, v7, v21
	v_mul_f32_e32 v7, 0xbe11bafb, v8
	v_fmamk_f32 v21, v45, 0xbe11bafb, v22
	v_add_f32_e32 v2, v6, v2
	v_mul_f32_e32 v6, 0x3e903f40, v34
	v_add_f32_e32 v1, v38, v1
	v_fmamk_f32 v38, v5, 0x3f7d64f0, v7
	v_add_f32_e32 v21, v21, v23
	v_fma_f32 v22, 0xbe11bafb, v45, -v22
	v_fmamk_f32 v23, v45, 0xbf75a155, v6
	v_fmac_f32_e32 v7, 0xbf7d64f0, v5
	v_add_f32_e32 v24, v38, v24
	v_mul_f32_e32 v38, 0xbf75a155, v8
	v_add_f32_e32 v11, v22, v11
	v_add_f32_e32 v22, v23, v36
	v_mul_f32_e32 v23, 0x3f68dda4, v34
	v_add_f32_e32 v37, v37, v46
	v_add_f32_e32 v7, v7, v25
	v_fmamk_f32 v25, v5, 0xbe903f40, v38
	v_fma_f32 v6, 0xbf75a155, v45, -v6
	v_fmac_f32_e32 v38, 0x3e903f40, v5
	v_mul_f32_e32 v36, 0x3ed4b147, v8
	v_fmamk_f32 v46, v45, 0x3ed4b147, v23
	v_add_f32_e32 v25, v25, v26
	v_add_f32_e32 v6, v6, v28
	;; [unrolled: 1-line block ×3, first 2 shown]
	v_fmamk_f32 v28, v5, 0xbf68dda4, v36
	v_add_f32_e32 v30, v46, v35
	v_mul_f32_e32 v35, 0xbf0a6770, v34
	v_fma_f32 v23, 0x3ed4b147, v45, -v23
	v_fmac_f32_e32 v36, 0x3f68dda4, v5
	v_add_f32_e32 v28, v28, v32
	v_mul_f32_e32 v32, 0x3f575c64, v8
	v_fmamk_f32 v38, v45, 0x3f575c64, v35
	v_add_f32_e32 v9, v23, v9
	v_add_f32_e32 v23, v36, v29
	v_mul_f32_e32 v29, 0xbf4178ce, v34
	v_fma_f32 v35, 0x3f575c64, v45, -v35
	v_add_f32_e32 v10, v50, v10
	v_add_f32_e32 v39, v39, v47
	v_fmamk_f32 v34, v5, 0x3f0a6770, v32
	v_fmac_f32_e32 v32, 0xbf0a6770, v5
	v_fmamk_f32 v36, v45, 0xbf27a4f4, v29
	v_mul_f32_e32 v8, 0xbf27a4f4, v8
	v_add_f32_e32 v31, v35, v31
	v_sub_f32_e32 v35, v14, v20
	v_add_f32_e32 v14, v20, v14
	v_add_f32_e32 v34, v34, v37
	;; [unrolled: 1-line block ×4, first 2 shown]
	v_fmamk_f32 v36, v5, 0x3f4178ce, v8
	v_fma_f32 v29, 0xbf27a4f4, v45, -v29
	v_add_f32_e32 v20, v19, v13
	v_mul_f32_e32 v37, 0xbf4178ce, v35
	v_fmac_f32_e32 v8, 0xbf4178ce, v5
	v_sub_f32_e32 v5, v13, v19
	v_mul_f32_e32 v13, 0xbf27a4f4, v14
	v_add_f32_e32 v19, v36, v27
	v_fmamk_f32 v27, v20, 0xbf27a4f4, v37
	v_add_f32_e32 v1, v29, v1
	v_add_f32_e32 v2, v8, v2
	v_fmamk_f32 v8, v5, 0x3f4178ce, v13
	v_mul_f32_e32 v29, 0x3f7d64f0, v35
	v_fmac_f32_e32 v13, 0xbf4178ce, v5
	v_add_f32_e32 v21, v27, v21
	v_fma_f32 v27, 0xbf27a4f4, v20, -v37
	v_add_f32_e32 v8, v8, v24
	v_fmamk_f32 v24, v20, 0xbe11bafb, v29
	v_mul_f32_e32 v36, 0xbe11bafb, v14
	v_add_f32_e32 v7, v13, v7
	v_mul_f32_e32 v13, 0xbf0a6770, v35
	v_add_f32_e32 v11, v27, v11
	v_add_f32_e32 v22, v24, v22
	v_fmamk_f32 v24, v5, 0xbf7d64f0, v36
	v_fma_f32 v27, 0xbe11bafb, v20, -v29
	v_fmamk_f32 v29, v20, 0x3f575c64, v13
	v_mul_f32_e32 v37, 0x3f575c64, v14
	v_add_f32_e32 v33, v38, v33
	v_add_f32_e32 v24, v24, v25
	;; [unrolled: 1-line block ×4, first 2 shown]
	v_fmamk_f32 v6, v5, 0x3f0a6770, v37
	v_mul_f32_e32 v29, 0xbe903f40, v35
	v_fmac_f32_e32 v36, 0x3f7d64f0, v5
	v_fma_f32 v13, 0x3f575c64, v20, -v13
	v_fmac_f32_e32 v37, 0xbf0a6770, v5
	v_mul_f32_e32 v30, 0xbf75a155, v14
	v_add_f32_e32 v28, v6, v28
	v_fmamk_f32 v6, v20, 0xbf75a155, v29
	v_mul_f32_e32 v35, 0x3f68dda4, v35
	v_add_f32_e32 v26, v36, v26
	v_add_f32_e32 v9, v13, v9
	;; [unrolled: 1-line block ×3, first 2 shown]
	v_fmamk_f32 v23, v5, 0x3e903f40, v30
	v_add_f32_e32 v33, v6, v33
	v_fma_f32 v6, 0xbf75a155, v20, -v29
	v_fmamk_f32 v29, v20, 0x3ed4b147, v35
	v_mul_f32_e32 v14, 0x3ed4b147, v14
	v_add_f32_e32 v36, v18, v16
	v_fmac_f32_e32 v30, 0xbe903f40, v5
	v_add_f32_e32 v23, v23, v34
	v_add_f32_e32 v31, v6, v31
	v_sub_f32_e32 v34, v16, v18
	v_add_f32_e32 v29, v29, v32
	v_fmamk_f32 v6, v5, 0xbf68dda4, v14
	v_add_f32_e32 v32, v17, v15
	v_fmac_f32_e32 v14, 0x3f68dda4, v5
	v_sub_f32_e32 v15, v15, v17
	v_mul_f32_e32 v5, 0xbf75a155, v36
	v_add_f32_e32 v30, v30, v10
	v_mul_f32_e32 v10, 0xbe903f40, v34
	v_add_f32_e32 v38, v14, v2
	v_fma_f32 v16, 0x3ed4b147, v20, -v35
	v_fmamk_f32 v2, v15, 0x3e903f40, v5
	v_add_f32_e32 v35, v6, v19
	v_fmamk_f32 v17, v32, 0xbf75a155, v10
	v_mul_f32_e32 v6, 0x3f0a6770, v34
	v_fma_f32 v10, 0xbf75a155, v32, -v10
	v_fmac_f32_e32 v5, 0xbe903f40, v15
	v_add_f32_e32 v2, v2, v8
	v_mul_f32_e32 v8, 0x3f575c64, v36
	v_fmamk_f32 v14, v32, 0x3f575c64, v6
	v_add_f32_e32 v18, v10, v11
	v_add_f32_e32 v19, v5, v7
	v_mul_f32_e32 v10, 0xbf4178ce, v34
	v_fmamk_f32 v7, v15, 0xbf0a6770, v8
	v_fma_f32 v11, 0x3f575c64, v32, -v6
	v_fmac_f32_e32 v8, 0x3f0a6770, v15
	v_mul_f32_e32 v20, 0xbf27a4f4, v36
	v_add_f32_e32 v37, v16, v1
	v_add_f32_e32 v1, v17, v21
	v_add_f32_e32 v5, v14, v22
	v_fmamk_f32 v14, v32, 0xbf27a4f4, v10
	v_add_f32_e32 v16, v11, v25
	v_add_f32_e32 v17, v8, v26
	v_mul_f32_e32 v11, 0x3f68dda4, v34
	v_fmamk_f32 v8, v15, 0x3f4178ce, v20
	v_fma_f32 v10, 0xbf27a4f4, v32, -v10
	v_fmac_f32_e32 v20, 0xbf4178ce, v15
	v_mul_f32_e32 v21, 0x3ed4b147, v36
	v_add_f32_e32 v6, v7, v24
	v_add_f32_e32 v7, v14, v27
	v_fmamk_f32 v14, v32, 0x3ed4b147, v11
	v_add_f32_e32 v9, v10, v9
	v_add_f32_e32 v10, v20, v13
	v_fmamk_f32 v20, v15, 0xbf68dda4, v21
	v_fma_f32 v11, 0x3ed4b147, v32, -v11
	v_mul_f32_e32 v22, 0xbf7d64f0, v34
	v_mul_f32_e32 v25, 0xbe11bafb, v36
	v_add_f32_e32 v13, v14, v33
	v_add_f32_e32 v14, v20, v23
	;; [unrolled: 1-line block ×3, first 2 shown]
	v_fmamk_f32 v11, v32, 0xbe11bafb, v22
	v_fmamk_f32 v23, v15, 0x3f7d64f0, v25
	v_fmac_f32_e32 v21, 0x3f68dda4, v15
	v_fma_f32 v24, 0xbe11bafb, v32, -v22
	v_fmac_f32_e32 v25, 0xbf7d64f0, v15
	v_add_f32_e32 v22, v11, v29
	v_mad_u32_u24 v11, 0x50, v44, v49
	v_add_f32_e32 v8, v8, v28
	v_add_f32_e32 v23, v23, v35
	;; [unrolled: 1-line block ×5, first 2 shown]
	ds_write2_b64 v11, v[3:4], v[1:2] offset1:1
	ds_write2_b64 v11, v[5:6], v[7:8] offset0:2 offset1:3
	ds_write2_b64 v11, v[13:14], v[22:23] offset0:4 offset1:5
	;; [unrolled: 1-line block ×4, first 2 shown]
	ds_write_b64 v11, v[18:19] offset:80
	v_add_nc_u32_e32 v8, 0x1c00, v49
	s_waitcnt lgkmcnt(0)
	s_barrier
	buffer_gl0_inv
	ds_read2_b64 v[4:7], v49 offset1:132
	ds_read2_b64 v[0:3], v0 offset0:8 offset1:228
	ds_read2_b64 v[8:11], v8 offset0:72 offset1:204
	;; [unrolled: 1-line block ×3, first 2 shown]
	ds_read_b64 v[20:21], v49 offset:9856
                                        ; implicit-def: $vgpr23
	s_and_saveexec_b32 s1, s0
	s_cbranch_execz .LBB0_23
; %bb.22:
	ds_read_b64 v[16:17], v49 offset:3168
	ds_read_b64 v[18:19], v49 offset:7040
	;; [unrolled: 1-line block ×3, first 2 shown]
.LBB0_23:
	s_or_b32 exec_lo, exec_lo, s1
	v_add_nc_u32_e32 v50, 0x108, v44
	v_mov_b32_e32 v27, 0xba2f
	v_add_nc_u32_e32 v26, 0x18c, v44
	v_mov_b32_e32 v31, 4
	v_mul_u32_u24_sdwa v24, v50, v27 dst_sel:DWORD dst_unused:UNUSED_PAD src0_sel:WORD_0 src1_sel:DWORD
	v_mul_u32_u24_sdwa v25, v26, v27 dst_sel:DWORD dst_unused:UNUSED_PAD src0_sel:WORD_0 src1_sel:DWORD
	v_lshrrev_b32_e32 v28, 19, v24
	v_and_b32_e32 v24, 0xff, v44
	v_lshrrev_b32_e32 v25, 19, v25
	v_mul_lo_u16 v29, v28, 11
	v_mul_lo_u16 v30, 0x75, v24
	;; [unrolled: 1-line block ×3, first 2 shown]
	v_mul_u32_u24_e32 v28, 0x108, v28
	v_sub_nc_u16 v29, v50, v29
	v_lshrrev_b16 v30, 8, v30
	v_sub_nc_u16 v26, v26, v32
	v_lshlrev_b32_sdwa v32, v31, v29 dst_sel:DWORD dst_unused:UNUSED_PAD src0_sel:DWORD src1_sel:WORD_0
	v_sub_nc_u16 v37, v44, v30
	v_lshlrev_b32_sdwa v38, v31, v26 dst_sel:DWORD dst_unused:UNUSED_PAD src0_sel:DWORD src1_sel:WORD_0
	s_clause 0x1
	global_load_dwordx4 v[33:36], v32, s[12:13]
	global_load_dwordx4 v[45:48], v38, s[12:13]
	v_lshrrev_b16 v32, 1, v37
	v_add_nc_u32_e32 v37, 0x84, v44
	v_and_b32_e32 v32, 0x7f, v32
	v_mul_u32_u24_sdwa v27, v37, v27 dst_sel:DWORD dst_unused:UNUSED_PAD src0_sel:WORD_0 src1_sel:DWORD
	v_add_nc_u16 v30, v32, v30
	v_lshrrev_b32_e32 v27, 19, v27
	v_lshrrev_b16 v30, 3, v30
	v_mul_lo_u16 v38, v27, 11
	v_mul_u32_u24_e32 v27, 0x108, v27
	v_mul_lo_u16 v32, v30, 11
	v_sub_nc_u16 v37, v37, v38
	v_sub_nc_u16 v39, v44, v32
	v_lshlrev_b32_sdwa v32, v31, v39 dst_sel:DWORD dst_unused:UNUSED_PAD src0_sel:DWORD src1_sel:BYTE_0
	v_lshlrev_b32_sdwa v31, v31, v37 dst_sel:DWORD dst_unused:UNUSED_PAD src0_sel:DWORD src1_sel:WORD_0
	s_clause 0x1
	global_load_dwordx4 v[51:54], v32, s[12:13]
	global_load_dwordx4 v[55:58], v31, s[12:13]
	v_mov_b32_e32 v32, 3
	s_waitcnt vmcnt(0) lgkmcnt(0)
	s_barrier
	buffer_gl0_inv
	v_lshlrev_b32_sdwa v31, v32, v37 dst_sel:DWORD dst_unused:UNUSED_PAD src0_sel:DWORD src1_sel:WORD_0
	v_mov_b32_e32 v37, 0x108
	v_lshlrev_b32_sdwa v29, v32, v29 dst_sel:DWORD dst_unused:UNUSED_PAD src0_sel:DWORD src1_sel:WORD_0
	v_add3_u32 v31, 0, v27, v31
	v_mul_u32_u24_sdwa v27, v30, v37 dst_sel:DWORD dst_unused:UNUSED_PAD src0_sel:WORD_0 src1_sel:DWORD
	v_lshlrev_b32_sdwa v30, v32, v39 dst_sel:DWORD dst_unused:UNUSED_PAD src0_sel:DWORD src1_sel:BYTE_0
	v_add3_u32 v37, 0, v28, v29
	v_add3_u32 v38, 0, v27, v30
	v_mul_f32_e32 v29, v34, v15
	v_mul_f32_e32 v30, v34, v14
	;; [unrolled: 1-line block ×8, first 2 shown]
	v_fmac_f32_e32 v29, v33, v14
	v_fma_f32 v30, v33, v15, -v30
	v_fmac_f32_e32 v34, v35, v20
	v_fma_f32 v20, v35, v21, -v36
	v_fmac_f32_e32 v28, v18, v45
	v_fmac_f32_e32 v27, v22, v47
	v_fma_f32 v14, v23, v47, -v46
	v_add_f32_e32 v23, v29, v34
	v_sub_f32_e32 v33, v30, v20
	v_add_f32_e32 v35, v1, v30
	v_add_f32_e32 v30, v30, v20
	v_fma_f32 v15, v19, v45, -v39
	v_add_f32_e32 v18, v0, v29
	v_sub_f32_e32 v36, v29, v34
	v_add_f32_e32 v29, v28, v27
	v_fma_f32 v0, -0.5, v23, v0
	v_fmac_f32_e32 v1, -0.5, v30
	v_add_f32_e32 v39, v15, v14
	v_add_f32_e32 v22, v18, v34
	;; [unrolled: 1-line block ×3, first 2 shown]
	v_fma_f32 v18, -0.5, v29, v16
	v_fmamk_f32 v29, v33, 0xbf5db3d7, v0
	v_fmac_f32_e32 v0, 0x3f5db3d7, v33
	v_fmamk_f32 v30, v36, 0x3f5db3d7, v1
	v_fmac_f32_e32 v1, 0xbf5db3d7, v36
	v_fma_f32 v20, -0.5, v39, v17
	v_sub_f32_e32 v21, v15, v14
	v_sub_f32_e32 v19, v28, v27
	v_mul_f32_e32 v33, v52, v3
	v_mul_f32_e32 v34, v52, v2
	;; [unrolled: 1-line block ×8, first 2 shown]
	v_fmac_f32_e32 v33, v51, v2
	v_fma_f32 v2, v51, v3, -v34
	v_fmac_f32_e32 v35, v53, v8
	v_fma_f32 v3, v53, v9, -v36
	;; [unrolled: 2-line block ×4, first 2 shown]
	v_add_f32_e32 v11, v33, v35
	v_add_f32_e32 v34, v2, v3
	v_add_f32_e32 v10, v4, v33
	v_add_f32_e32 v46, v39, v47
	v_add_f32_e32 v52, v8, v9
	v_sub_f32_e32 v12, v2, v3
	v_add_f32_e32 v13, v5, v2
	v_sub_f32_e32 v33, v33, v35
	v_fma_f32 v4, -0.5, v11, v4
	v_fma_f32 v5, -0.5, v34, v5
	v_add_f32_e32 v36, v6, v39
	v_sub_f32_e32 v48, v8, v9
	v_add_f32_e32 v51, v7, v8
	v_sub_f32_e32 v39, v39, v47
	v_fma_f32 v6, -0.5, v46, v6
	v_fmac_f32_e32 v7, -0.5, v52
	v_fmamk_f32 v45, v21, 0x3f5db3d7, v18
	v_add_f32_e32 v2, v10, v35
	v_add_f32_e32 v3, v13, v3
	v_fmamk_f32 v10, v12, 0xbf5db3d7, v4
	v_fmamk_f32 v11, v33, 0x3f5db3d7, v5
	;; [unrolled: 1-line block ×3, first 2 shown]
	v_fmac_f32_e32 v4, 0x3f5db3d7, v12
	v_fmac_f32_e32 v5, 0xbf5db3d7, v33
	v_add_f32_e32 v8, v36, v47
	v_add_f32_e32 v9, v51, v9
	v_fmamk_f32 v12, v48, 0xbf5db3d7, v6
	v_fmamk_f32 v13, v39, 0x3f5db3d7, v7
	v_fmac_f32_e32 v6, 0x3f5db3d7, v48
	v_fmac_f32_e32 v7, 0xbf5db3d7, v39
	ds_write2_b64 v38, v[2:3], v[10:11] offset1:11
	ds_write_b64 v38, v[4:5] offset:176
	ds_write2_b64 v31, v[8:9], v[12:13] offset1:11
	ds_write_b64 v31, v[6:7] offset:176
	;; [unrolled: 2-line block ×3, first 2 shown]
	s_and_saveexec_b32 s1, s0
	s_cbranch_execz .LBB0_25
; %bb.24:
	v_mul_lo_u16 v1, v25, 33
	v_mul_f32_e32 v0, 0x3f5db3d7, v21
	v_mul_f32_e32 v2, 0x3f5db3d7, v19
	v_add_f32_e32 v3, v17, v15
	v_add_f32_e32 v4, v16, v28
	v_lshlrev_b32_sdwa v5, v32, v26 dst_sel:DWORD dst_unused:UNUSED_PAD src0_sel:DWORD src1_sel:WORD_0
	v_lshlrev_b32_sdwa v6, v32, v1 dst_sel:DWORD dst_unused:UNUSED_PAD src0_sel:DWORD src1_sel:WORD_0
	v_add_f32_e32 v1, v2, v20
	v_sub_f32_e32 v0, v18, v0
	v_add_f32_e32 v3, v3, v14
	v_add_f32_e32 v2, v4, v27
	v_add3_u32 v4, 0, v5, v6
	ds_write2_b64 v4, v[2:3], v[0:1] offset1:11
	ds_write_b64 v4, v[45:46] offset:176
.LBB0_25:
	s_or_b32 exec_lo, exec_lo, s1
	v_mul_lo_u16 v0, 0xf9, v24
	v_mov_b32_e32 v1, 10
	s_waitcnt lgkmcnt(0)
	s_barrier
	buffer_gl0_inv
	v_lshrrev_b16 v33, 13, v0
	v_add_nc_u32_e32 v51, 0x800, v49
	v_add_nc_u32_e32 v28, 0x1000, v49
	v_mov_b32_e32 v35, 0xb58
	v_add_nc_u32_e32 v36, 0x1800, v49
	v_mul_lo_u16 v0, v33, 33
	v_add_nc_u32_e32 v52, 0x2000, v49
	v_cmp_gt_u32_e64 s0, 0x63, v44
	v_mul_u32_u24_sdwa v53, v33, v35 dst_sel:DWORD dst_unused:UNUSED_PAD src0_sel:WORD_0 src1_sel:DWORD
	v_sub_nc_u16 v34, v44, v0
	v_mul_u32_u24_sdwa v0, v34, v1 dst_sel:DWORD dst_unused:UNUSED_PAD src0_sel:BYTE_0 src1_sel:DWORD
	v_lshlrev_b32_sdwa v54, v32, v34 dst_sel:DWORD dst_unused:UNUSED_PAD src0_sel:DWORD src1_sel:BYTE_0
	v_lshlrev_b32_e32 v0, 3, v0
	v_add3_u32 v53, 0, v53, v54
	v_add_nc_u32_e32 v54, 0x1400, v49
	s_clause 0x4
	global_load_dwordx4 v[16:19], v0, s[12:13] offset:176
	global_load_dwordx4 v[12:15], v0, s[12:13] offset:192
	;; [unrolled: 1-line block ×5, first 2 shown]
	ds_read2_b64 v[0:3], v49 offset1:132
	ds_read2_b64 v[24:27], v51 offset0:8 offset1:140
	ds_read2_b64 v[28:31], v28 offset0:16 offset1:148
	;; [unrolled: 1-line block ×3, first 2 shown]
	ds_read_b64 v[47:48], v49 offset:10560
	ds_read2_b64 v[32:35], v52 offset0:32 offset1:164
	v_add_nc_u32_e32 v55, 0x800, v53
	s_waitcnt vmcnt(0) lgkmcnt(0)
	s_barrier
	buffer_gl0_inv
	v_mul_f32_e32 v56, v17, v3
	v_mul_f32_e32 v17, v17, v2
	;; [unrolled: 1-line block ×16, first 2 shown]
	v_fmac_f32_e32 v56, v16, v2
	v_fma_f32 v2, v16, v3, -v17
	v_mul_f32_e32 v60, v9, v31
	v_mul_f32_e32 v9, v9, v30
	;; [unrolled: 1-line block ×4, first 2 shown]
	v_fmac_f32_e32 v57, v18, v24
	v_fma_f32 v3, v18, v25, -v19
	v_fmac_f32_e32 v58, v12, v26
	v_fma_f32 v12, v12, v27, -v13
	;; [unrolled: 2-line block ×5, first 2 shown]
	v_fma_f32 v14, v48, v22, -v23
	v_fma_f32 v15, v35, v20, -v21
	v_add_f32_e32 v6, v56, v0
	v_add_f32_e32 v7, v2, v1
	v_fmac_f32_e32 v60, v8, v30
	v_fma_f32 v8, v8, v31, -v9
	v_fma_f32 v9, v37, v10, -v11
	v_fmac_f32_e32 v64, v34, v20
	v_fmac_f32_e32 v65, v47, v22
	v_add_f32_e32 v11, v2, v14
	v_sub_f32_e32 v2, v2, v14
	v_add_f32_e32 v18, v3, v15
	v_sub_f32_e32 v20, v3, v15
	v_add_f32_e32 v6, v6, v57
	v_add_f32_e32 v3, v7, v3
	v_fmac_f32_e32 v61, v36, v10
	v_add_f32_e32 v10, v56, v65
	v_sub_f32_e32 v16, v56, v65
	v_sub_f32_e32 v21, v12, v5
	v_add_f32_e32 v23, v12, v5
	v_sub_f32_e32 v25, v13, v4
	v_add_f32_e32 v27, v13, v4
	v_sub_f32_e32 v29, v8, v9
	v_mul_f32_e32 v7, 0xbf0a6770, v2
	v_mul_f32_e32 v33, 0x3f575c64, v11
	;; [unrolled: 1-line block ×8, first 2 shown]
	v_add_f32_e32 v3, v3, v12
	v_add_f32_e32 v6, v6, v58
	v_mul_f32_e32 v39, 0xbf27a4f4, v11
	v_mul_f32_e32 v11, 0xbf75a155, v11
	v_add_f32_e32 v17, v57, v64
	v_sub_f32_e32 v19, v57, v64
	v_add_f32_e32 v22, v58, v63
	v_sub_f32_e32 v24, v58, v63
	;; [unrolled: 2-line block ×3, first 2 shown]
	v_add_f32_e32 v30, v60, v61
	v_add_f32_e32 v31, v8, v9
	v_mul_f32_e32 v47, 0xbf68dda4, v20
	v_mul_f32_e32 v48, 0x3ed4b147, v18
	;; [unrolled: 1-line block ×35, first 2 shown]
	v_fmamk_f32 v93, v10, 0x3f575c64, v7
	v_fmamk_f32 v94, v16, 0x3f0a6770, v33
	v_fma_f32 v7, 0x3f575c64, v10, -v7
	v_fmac_f32_e32 v33, 0xbf0a6770, v16
	v_fmamk_f32 v95, v10, 0x3ed4b147, v34
	v_fmamk_f32 v96, v16, 0x3f68dda4, v35
	v_fma_f32 v34, 0x3ed4b147, v10, -v34
	v_fmamk_f32 v97, v10, 0xbe11bafb, v36
	v_fmamk_f32 v98, v16, 0x3f7d64f0, v37
	v_fma_f32 v36, 0xbe11bafb, v10, -v36
	v_fmamk_f32 v99, v10, 0xbf27a4f4, v38
	v_fma_f32 v38, 0xbf27a4f4, v10, -v38
	v_fmamk_f32 v101, v10, 0xbf75a155, v2
	v_add_f32_e32 v6, v6, v59
	v_add_f32_e32 v3, v3, v13
	v_fmac_f32_e32 v35, 0xbf68dda4, v16
	v_fmac_f32_e32 v37, 0xbf7d64f0, v16
	v_fmamk_f32 v100, v16, 0x3f4178ce, v39
	v_fmac_f32_e32 v39, 0xbf4178ce, v16
	v_fma_f32 v2, 0xbf75a155, v10, -v2
	v_fmamk_f32 v10, v16, 0x3e903f40, v11
	v_fmac_f32_e32 v11, 0xbe903f40, v16
	v_sub_f32_e32 v32, v60, v61
	v_mul_f32_e32 v90, 0xbf75a155, v31
	v_mul_f32_e32 v91, 0x3f575c64, v31
	;; [unrolled: 1-line block ×3, first 2 shown]
	v_fmamk_f32 v16, v17, 0x3ed4b147, v47
	v_fma_f32 v47, 0x3ed4b147, v17, -v47
	v_fmamk_f32 v102, v17, 0xbf27a4f4, v56
	v_fma_f32 v56, 0xbf27a4f4, v17, -v56
	v_fmamk_f32 v103, v17, 0xbf75a155, v66
	v_fma_f32 v66, 0xbf75a155, v17, -v66
	v_fmamk_f32 v104, v17, 0xbe11bafb, v68
	v_fma_f32 v68, 0xbe11bafb, v17, -v68
	v_fmamk_f32 v105, v17, 0x3f575c64, v20
	v_fma_f32 v17, 0x3f575c64, v17, -v20
	v_fmamk_f32 v20, v19, 0x3f68dda4, v48
	v_fmac_f32_e32 v48, 0xbf68dda4, v19
	v_fmamk_f32 v106, v19, 0x3f4178ce, v57
	v_fmac_f32_e32 v57, 0xbf4178ce, v19
	v_fmamk_f32 v107, v19, 0xbe903f40, v67
	v_fmac_f32_e32 v67, 0x3e903f40, v19
	v_fmamk_f32 v108, v19, 0xbf7d64f0, v69
	v_fmac_f32_e32 v69, 0x3f7d64f0, v19
	v_fmamk_f32 v109, v19, 0xbf0a6770, v18
	v_fmac_f32_e32 v18, 0x3f0a6770, v19
	v_fmamk_f32 v19, v22, 0xbe11bafb, v70
	v_fma_f32 v70, 0xbe11bafb, v22, -v70
	v_fmamk_f32 v110, v22, 0xbf75a155, v71
	v_fma_f32 v71, 0xbf75a155, v22, -v71
	v_fmamk_f32 v111, v22, 0x3ed4b147, v72
	v_fma_f32 v72, 0x3ed4b147, v22, -v72
	v_fmamk_f32 v112, v22, 0x3f575c64, v73
	v_fma_f32 v73, 0x3f575c64, v22, -v73
	v_fmamk_f32 v113, v22, 0xbf27a4f4, v21
	v_fma_f32 v21, 0xbf27a4f4, v22, -v21
	v_fmamk_f32 v12, v24, 0x3f7d64f0, v74
	v_fmac_f32_e32 v74, 0xbf7d64f0, v24
	v_fmamk_f32 v22, v24, 0xbe903f40, v75
	v_fmac_f32_e32 v75, 0x3e903f40, v24
	v_fmamk_f32 v58, v24, 0xbf68dda4, v76
	v_fmac_f32_e32 v76, 0x3f68dda4, v24
	v_fmamk_f32 v114, v24, 0x3f0a6770, v77
	v_fmac_f32_e32 v77, 0xbf0a6770, v24
	v_fmamk_f32 v115, v24, 0x3f4178ce, v23
	v_fmac_f32_e32 v23, 0xbf4178ce, v24
	;; [unrolled: 20-line block ×3, first 2 shown]
	v_fmamk_f32 v28, v30, 0xbf75a155, v86
	v_fma_f32 v86, 0xbf75a155, v30, -v86
	v_fmamk_f32 v124, v30, 0x3f575c64, v87
	v_fma_f32 v87, 0x3f575c64, v30, -v87
	;; [unrolled: 2-line block ×5, first 2 shown]
	v_mul_f32_e32 v30, 0x3ed4b147, v31
	v_mul_f32_e32 v31, 0xbe11bafb, v31
	v_add_f32_e32 v93, v93, v0
	v_add_f32_e32 v94, v94, v1
	;; [unrolled: 1-line block ×22, first 2 shown]
	v_fmamk_f32 v2, v32, 0x3e903f40, v90
	v_fmac_f32_e32 v90, 0xbe903f40, v32
	v_fmamk_f32 v11, v32, 0xbf0a6770, v91
	v_fmac_f32_e32 v91, 0x3f0a6770, v32
	;; [unrolled: 2-line block ×5, first 2 shown]
	v_add_f32_e32 v8, v16, v93
	v_add_f32_e32 v16, v20, v94
	;; [unrolled: 1-line block ×88, first 2 shown]
	ds_write2_b64 v53, v[2:3], v[4:5] offset0:66 offset1:99
	v_add_f32_e32 v2, v22, v65
	v_add_f32_e32 v3, v15, v14
	ds_write2_b64 v53, v[6:7], v[10:11] offset0:132 offset1:165
	ds_write2_b64 v53, v[12:13], v[8:9] offset0:198 offset1:231
	;; [unrolled: 1-line block ×3, first 2 shown]
	ds_write_b64 v53, v[18:19] offset:2640
	ds_write2_b64 v53, v[2:3], v[0:1] offset1:33
	s_waitcnt lgkmcnt(0)
	s_barrier
	buffer_gl0_inv
	ds_read2_b64 v[0:3], v49 offset1:132
	ds_read2_b64 v[8:11], v51 offset0:107 offset1:239
	ds_read2_b64 v[4:7], v54 offset0:86 offset1:218
	;; [unrolled: 1-line block ×3, first 2 shown]
	s_and_saveexec_b32 s1, s0
	s_cbranch_execz .LBB0_27
; %bb.26:
	ds_read_b64 v[16:17], v49 offset:2112
	ds_read_b64 v[20:21], v49 offset:5016
	ds_read_b64 v[18:19], v49 offset:7920
	ds_read_b64 v[45:46], v49 offset:10824
.LBB0_27:
	s_or_b32 exec_lo, exec_lo, s1
	v_mul_u32_u24_e32 v22, 3, v44
	v_lshlrev_b32_e32 v22, 3, v22
	v_add_co_u32 v30, s1, s12, v22
	v_add_co_ci_u32_e64 v31, null, s13, 0, s1
	v_add_co_u32 v22, s1, 0xb00, v30
	v_add_co_ci_u32_e64 v23, s1, 0, v31, s1
	v_add_co_u32 v24, s1, 0x800, v30
	v_add_co_ci_u32_e64 v25, s1, 0, v31, s1
	;; [unrolled: 2-line block ×3, first 2 shown]
	s_clause 0x1
	global_load_dwordx4 v[24:27], v[24:25], off offset:768
	global_load_dwordx2 v[32:33], v[22:23], off offset:16
	v_add_co_u32 v22, s1, 0x1760, v30
	v_add_co_ci_u32_e64 v23, s1, 0, v31, s1
	s_clause 0x1
	global_load_dwordx4 v[28:31], v[28:29], off offset:1888
	global_load_dwordx2 v[34:35], v[22:23], off offset:16
	v_mov_b32_e32 v23, 0
	s_waitcnt vmcnt(0) lgkmcnt(0)
	s_barrier
	buffer_gl0_inv
	v_mul_f32_e32 v22, v25, v9
	v_mul_f32_e32 v25, v25, v8
	;; [unrolled: 1-line block ×6, first 2 shown]
	v_fmac_f32_e32 v22, v24, v8
	v_mul_f32_e32 v38, v29, v11
	v_mul_f32_e32 v29, v29, v10
	;; [unrolled: 1-line block ×6, first 2 shown]
	v_fma_f32 v8, v24, v9, -v25
	v_fmac_f32_e32 v36, v26, v4
	v_fma_f32 v4, v26, v5, -v27
	v_fmac_f32_e32 v37, v32, v12
	;; [unrolled: 2-line block ×5, first 2 shown]
	v_fma_f32 v7, v34, v15, -v35
	v_sub_f32_e32 v10, v0, v36
	v_sub_f32_e32 v11, v1, v4
	;; [unrolled: 1-line block ×8, first 2 shown]
	v_fma_f32 v14, v0, 2.0, -v10
	v_fma_f32 v15, v1, 2.0, -v11
	;; [unrolled: 1-line block ×8, first 2 shown]
	v_add_f32_e32 v0, v10, v5
	v_sub_f32_e32 v1, v11, v4
	v_add_f32_e32 v2, v12, v7
	v_sub_f32_e32 v3, v13, v6
	v_sub_f32_e32 v4, v14, v22
	;; [unrolled: 1-line block ×5, first 2 shown]
	v_fma_f32 v6, v10, 2.0, -v0
	v_fma_f32 v7, v11, 2.0, -v1
	;; [unrolled: 1-line block ×8, first 2 shown]
	ds_write2_b64 v51, v[6:7], v[10:11] offset0:107 offset1:239
	ds_write2_b64 v54, v[4:5], v[8:9] offset0:86 offset1:218
	ds_write2_b64 v49, v[12:13], v[14:15] offset1:132
	ds_write2_b64 v52, v[0:1], v[2:3] offset0:65 offset1:197
	s_and_saveexec_b32 s1, s0
	s_cbranch_execz .LBB0_29
; %bb.28:
	v_add_nc_u32_e32 v0, 0xffffff9d, v44
	v_cndmask_b32_e64 v0, v0, v50, s0
	v_mul_i32_i24_e32 v22, 3, v0
	v_lshlrev_b64 v[0:1], 3, v[22:23]
	v_add_co_u32 v2, s0, s12, v0
	v_add_co_ci_u32_e64 v3, s0, s13, v1, s0
	v_add_co_u32 v0, s0, 0x800, v2
	v_add_co_ci_u32_e64 v1, s0, 0, v3, s0
	;; [unrolled: 2-line block ×3, first 2 shown]
	s_clause 0x1
	global_load_dwordx4 v[0:3], v[0:1], off offset:768
	global_load_dwordx2 v[4:5], v[4:5], off offset:16
	s_waitcnt vmcnt(1)
	v_mul_f32_e32 v6, v18, v3
	v_mul_f32_e32 v7, v21, v1
	s_waitcnt vmcnt(0)
	v_mul_f32_e32 v8, v46, v5
	v_mul_f32_e32 v1, v20, v1
	;; [unrolled: 1-line block ×4, first 2 shown]
	v_fma_f32 v6, v19, v2, -v6
	v_fmac_f32_e32 v7, v20, v0
	v_fma_f32 v0, v21, v0, -v1
	v_fma_f32 v1, v46, v4, -v5
	v_fmac_f32_e32 v3, v18, v2
	v_fmac_f32_e32 v8, v45, v4
	v_sub_f32_e32 v4, v17, v6
	v_sub_f32_e32 v2, v0, v1
	;; [unrolled: 1-line block ×4, first 2 shown]
	v_fma_f32 v8, v17, 2.0, -v4
	v_fma_f32 v3, v0, 2.0, -v2
	;; [unrolled: 1-line block ×4, first 2 shown]
	v_sub_f32_e32 v1, v4, v1
	v_add_f32_e32 v0, v6, v2
	v_sub_f32_e32 v3, v8, v3
	v_sub_f32_e32 v2, v9, v5
	v_fma_f32 v5, v4, 2.0, -v1
	v_fma_f32 v4, v6, 2.0, -v0
	;; [unrolled: 1-line block ×4, first 2 shown]
	ds_write_b64 v49, v[4:5] offset:5016
	ds_write_b64 v49, v[2:3] offset:7920
	;; [unrolled: 1-line block ×4, first 2 shown]
.LBB0_29:
	s_or_b32 exec_lo, exec_lo, s1
	s_waitcnt lgkmcnt(0)
	s_barrier
	buffer_gl0_inv
	s_and_saveexec_b32 s0, vcc_lo
	s_cbranch_execz .LBB0_31
; %bb.30:
	v_mul_lo_u32 v2, s3, v42
	v_mul_lo_u32 v3, s2, v43
	v_mad_u64_u32 v[0:1], null, s2, v42, 0
	v_lshl_add_u32 v16, v44, 3, 0
	v_mov_b32_e32 v45, 0
	v_lshlrev_b64 v[4:5], 3, v[40:41]
	v_add_nc_u32_e32 v8, 0x84, v44
	v_add_nc_u32_e32 v10, 0x108, v44
	;; [unrolled: 1-line block ×3, first 2 shown]
	v_add3_u32 v1, v1, v3, v2
	v_lshlrev_b64 v[12:13], 3, v[44:45]
	v_mov_b32_e32 v9, v45
	v_mov_b32_e32 v11, v45
	;; [unrolled: 1-line block ×3, first 2 shown]
	v_lshlrev_b64 v[6:7], 3, v[0:1]
	ds_read2_b64 v[0:3], v16 offset1:132
	v_lshlrev_b64 v[8:9], 3, v[8:9]
	v_lshlrev_b64 v[10:11], 3, v[10:11]
	v_add_co_u32 v6, vcc_lo, s10, v6
	v_add_co_ci_u32_e32 v7, vcc_lo, s11, v7, vcc_lo
	v_add_co_u32 v20, vcc_lo, v6, v4
	v_add_co_ci_u32_e32 v21, vcc_lo, v7, v5, vcc_lo
	ds_read2_b64 v[4:7], v14 offset0:8 offset1:140
	v_add_co_u32 v12, vcc_lo, v20, v12
	v_add_co_ci_u32_e32 v13, vcc_lo, v21, v13, vcc_lo
	v_add_nc_u32_e32 v14, 0x1000, v16
	s_waitcnt lgkmcnt(1)
	global_store_dwordx2 v[12:13], v[0:1], off
	v_add_co_u32 v0, vcc_lo, v20, v8
	v_add_co_ci_u32_e32 v1, vcc_lo, v21, v9, vcc_lo
	v_add_co_u32 v8, vcc_lo, v20, v10
	v_add_co_ci_u32_e32 v9, vcc_lo, v21, v11, vcc_lo
	v_add_nc_u32_e32 v10, 0x18c, v44
	v_mov_b32_e32 v11, v45
	global_store_dwordx2 v[0:1], v[2:3], off
	s_waitcnt lgkmcnt(0)
	global_store_dwordx2 v[8:9], v[4:5], off
	v_add_nc_u32_e32 v12, 0x210, v44
	v_mov_b32_e32 v13, v45
	ds_read2_b64 v[0:3], v14 offset0:16 offset1:148
	v_lshlrev_b64 v[4:5], 3, v[10:11]
	v_add_nc_u32_e32 v10, 0x294, v44
	v_add_nc_u32_e32 v14, 0x1800, v16
	v_lshlrev_b64 v[8:9], 3, v[12:13]
	v_add_nc_u32_e32 v12, 0x318, v44
	v_add_co_u32 v4, vcc_lo, v20, v4
	v_lshlrev_b64 v[10:11], 3, v[10:11]
	v_add_co_ci_u32_e32 v5, vcc_lo, v21, v5, vcc_lo
	v_add_co_u32 v8, vcc_lo, v20, v8
	v_add_co_ci_u32_e32 v9, vcc_lo, v21, v9, vcc_lo
	v_add_co_u32 v10, vcc_lo, v20, v10
	v_add_co_ci_u32_e32 v11, vcc_lo, v21, v11, vcc_lo
	global_store_dwordx2 v[4:5], v[6:7], off
	s_waitcnt lgkmcnt(0)
	global_store_dwordx2 v[8:9], v[0:1], off
	global_store_dwordx2 v[10:11], v[2:3], off
	v_lshlrev_b64 v[4:5], 3, v[12:13]
	ds_read2_b64 v[0:3], v14 offset0:24 offset1:156
	v_add_nc_u32_e32 v6, 0x39c, v44
	v_mov_b32_e32 v7, v45
	v_add_nc_u32_e32 v14, 0x2000, v16
	v_add_nc_u32_e32 v8, 0x420, v44
	v_mov_b32_e32 v9, v45
	v_add_co_u32 v10, vcc_lo, v20, v4
	v_add_co_ci_u32_e32 v11, vcc_lo, v21, v5, vcc_lo
	v_lshlrev_b64 v[12:13], 3, v[6:7]
	ds_read2_b64 v[4:7], v14 offset0:32 offset1:164
	v_add_nc_u32_e32 v14, 0x4a4, v44
	ds_read_b64 v[16:17], v16 offset:10560
	v_lshlrev_b64 v[8:9], 3, v[8:9]
	v_add_nc_u32_e32 v44, 0x528, v44
	v_add_co_u32 v12, vcc_lo, v20, v12
	v_lshlrev_b64 v[14:15], 3, v[14:15]
	v_add_co_ci_u32_e32 v13, vcc_lo, v21, v13, vcc_lo
	v_add_co_u32 v8, vcc_lo, v20, v8
	v_lshlrev_b64 v[18:19], 3, v[44:45]
	v_add_co_ci_u32_e32 v9, vcc_lo, v21, v9, vcc_lo
	v_add_co_u32 v14, vcc_lo, v20, v14
	v_add_co_ci_u32_e32 v15, vcc_lo, v21, v15, vcc_lo
	v_add_co_u32 v18, vcc_lo, v20, v18
	v_add_co_ci_u32_e32 v19, vcc_lo, v21, v19, vcc_lo
	s_waitcnt lgkmcnt(2)
	global_store_dwordx2 v[10:11], v[0:1], off
	global_store_dwordx2 v[12:13], v[2:3], off
	s_waitcnt lgkmcnt(1)
	global_store_dwordx2 v[8:9], v[4:5], off
	global_store_dwordx2 v[14:15], v[6:7], off
	s_waitcnt lgkmcnt(0)
	global_store_dwordx2 v[18:19], v[16:17], off
.LBB0_31:
	s_endpgm
	.section	.rodata,"a",@progbits
	.p2align	6, 0x0
	.amdhsa_kernel fft_rtc_back_len1452_factors_11_3_11_4_wgs_132_tpt_132_halfLds_sp_op_CI_CI_unitstride_sbrr_C2R_dirReg
		.amdhsa_group_segment_fixed_size 0
		.amdhsa_private_segment_fixed_size 0
		.amdhsa_kernarg_size 104
		.amdhsa_user_sgpr_count 6
		.amdhsa_user_sgpr_private_segment_buffer 1
		.amdhsa_user_sgpr_dispatch_ptr 0
		.amdhsa_user_sgpr_queue_ptr 0
		.amdhsa_user_sgpr_kernarg_segment_ptr 1
		.amdhsa_user_sgpr_dispatch_id 0
		.amdhsa_user_sgpr_flat_scratch_init 0
		.amdhsa_user_sgpr_private_segment_size 0
		.amdhsa_wavefront_size32 1
		.amdhsa_uses_dynamic_stack 0
		.amdhsa_system_sgpr_private_segment_wavefront_offset 0
		.amdhsa_system_sgpr_workgroup_id_x 1
		.amdhsa_system_sgpr_workgroup_id_y 0
		.amdhsa_system_sgpr_workgroup_id_z 0
		.amdhsa_system_sgpr_workgroup_info 0
		.amdhsa_system_vgpr_workitem_id 0
		.amdhsa_next_free_vgpr 130
		.amdhsa_next_free_sgpr 27
		.amdhsa_reserve_vcc 1
		.amdhsa_reserve_flat_scratch 0
		.amdhsa_float_round_mode_32 0
		.amdhsa_float_round_mode_16_64 0
		.amdhsa_float_denorm_mode_32 3
		.amdhsa_float_denorm_mode_16_64 3
		.amdhsa_dx10_clamp 1
		.amdhsa_ieee_mode 1
		.amdhsa_fp16_overflow 0
		.amdhsa_workgroup_processor_mode 1
		.amdhsa_memory_ordered 1
		.amdhsa_forward_progress 0
		.amdhsa_shared_vgpr_count 0
		.amdhsa_exception_fp_ieee_invalid_op 0
		.amdhsa_exception_fp_denorm_src 0
		.amdhsa_exception_fp_ieee_div_zero 0
		.amdhsa_exception_fp_ieee_overflow 0
		.amdhsa_exception_fp_ieee_underflow 0
		.amdhsa_exception_fp_ieee_inexact 0
		.amdhsa_exception_int_div_zero 0
	.end_amdhsa_kernel
	.text
.Lfunc_end0:
	.size	fft_rtc_back_len1452_factors_11_3_11_4_wgs_132_tpt_132_halfLds_sp_op_CI_CI_unitstride_sbrr_C2R_dirReg, .Lfunc_end0-fft_rtc_back_len1452_factors_11_3_11_4_wgs_132_tpt_132_halfLds_sp_op_CI_CI_unitstride_sbrr_C2R_dirReg
                                        ; -- End function
	.section	.AMDGPU.csdata,"",@progbits
; Kernel info:
; codeLenInByte = 9704
; NumSgprs: 29
; NumVgprs: 130
; ScratchSize: 0
; MemoryBound: 0
; FloatMode: 240
; IeeeMode: 1
; LDSByteSize: 0 bytes/workgroup (compile time only)
; SGPRBlocks: 3
; VGPRBlocks: 16
; NumSGPRsForWavesPerEU: 29
; NumVGPRsForWavesPerEU: 130
; Occupancy: 7
; WaveLimiterHint : 1
; COMPUTE_PGM_RSRC2:SCRATCH_EN: 0
; COMPUTE_PGM_RSRC2:USER_SGPR: 6
; COMPUTE_PGM_RSRC2:TRAP_HANDLER: 0
; COMPUTE_PGM_RSRC2:TGID_X_EN: 1
; COMPUTE_PGM_RSRC2:TGID_Y_EN: 0
; COMPUTE_PGM_RSRC2:TGID_Z_EN: 0
; COMPUTE_PGM_RSRC2:TIDIG_COMP_CNT: 0
	.text
	.p2alignl 6, 3214868480
	.fill 48, 4, 3214868480
	.type	__hip_cuid_85f2d55c4e03d563,@object ; @__hip_cuid_85f2d55c4e03d563
	.section	.bss,"aw",@nobits
	.globl	__hip_cuid_85f2d55c4e03d563
__hip_cuid_85f2d55c4e03d563:
	.byte	0                               ; 0x0
	.size	__hip_cuid_85f2d55c4e03d563, 1

	.ident	"AMD clang version 19.0.0git (https://github.com/RadeonOpenCompute/llvm-project roc-6.4.0 25133 c7fe45cf4b819c5991fe208aaa96edf142730f1d)"
	.section	".note.GNU-stack","",@progbits
	.addrsig
	.addrsig_sym __hip_cuid_85f2d55c4e03d563
	.amdgpu_metadata
---
amdhsa.kernels:
  - .args:
      - .actual_access:  read_only
        .address_space:  global
        .offset:         0
        .size:           8
        .value_kind:     global_buffer
      - .offset:         8
        .size:           8
        .value_kind:     by_value
      - .actual_access:  read_only
        .address_space:  global
        .offset:         16
        .size:           8
        .value_kind:     global_buffer
      - .actual_access:  read_only
        .address_space:  global
        .offset:         24
        .size:           8
        .value_kind:     global_buffer
      - .actual_access:  read_only
        .address_space:  global
        .offset:         32
        .size:           8
        .value_kind:     global_buffer
      - .offset:         40
        .size:           8
        .value_kind:     by_value
      - .actual_access:  read_only
        .address_space:  global
        .offset:         48
        .size:           8
        .value_kind:     global_buffer
      - .actual_access:  read_only
        .address_space:  global
        .offset:         56
        .size:           8
        .value_kind:     global_buffer
      - .offset:         64
        .size:           4
        .value_kind:     by_value
      - .actual_access:  read_only
        .address_space:  global
        .offset:         72
        .size:           8
        .value_kind:     global_buffer
      - .actual_access:  read_only
        .address_space:  global
        .offset:         80
        .size:           8
        .value_kind:     global_buffer
      - .actual_access:  read_only
        .address_space:  global
        .offset:         88
        .size:           8
        .value_kind:     global_buffer
      - .actual_access:  write_only
        .address_space:  global
        .offset:         96
        .size:           8
        .value_kind:     global_buffer
    .group_segment_fixed_size: 0
    .kernarg_segment_align: 8
    .kernarg_segment_size: 104
    .language:       OpenCL C
    .language_version:
      - 2
      - 0
    .max_flat_workgroup_size: 132
    .name:           fft_rtc_back_len1452_factors_11_3_11_4_wgs_132_tpt_132_halfLds_sp_op_CI_CI_unitstride_sbrr_C2R_dirReg
    .private_segment_fixed_size: 0
    .sgpr_count:     29
    .sgpr_spill_count: 0
    .symbol:         fft_rtc_back_len1452_factors_11_3_11_4_wgs_132_tpt_132_halfLds_sp_op_CI_CI_unitstride_sbrr_C2R_dirReg.kd
    .uniform_work_group_size: 1
    .uses_dynamic_stack: false
    .vgpr_count:     130
    .vgpr_spill_count: 0
    .wavefront_size: 32
    .workgroup_processor_mode: 1
amdhsa.target:   amdgcn-amd-amdhsa--gfx1030
amdhsa.version:
  - 1
  - 2
...

	.end_amdgpu_metadata
